;; amdgpu-corpus repo=zjin-lcf/HeCBench kind=compiled arch=gfx1201 opt=O3
	.amdgcn_target "amdgcn-amd-amdhsa--gfx1201"
	.amdhsa_code_object_version 6
	.section	.text._Z24reshape_and_cache_kernelIfhL18Fp8KVCacheDataType1EEvPKT_S3_PT0_S5_PKliiiiiiff,"axG",@progbits,_Z24reshape_and_cache_kernelIfhL18Fp8KVCacheDataType1EEvPKT_S3_PT0_S5_PKliiiiiiff,comdat
	.protected	_Z24reshape_and_cache_kernelIfhL18Fp8KVCacheDataType1EEvPKT_S3_PT0_S5_PKliiiiiiff ; -- Begin function _Z24reshape_and_cache_kernelIfhL18Fp8KVCacheDataType1EEvPKT_S3_PT0_S5_PKliiiiiiff
	.globl	_Z24reshape_and_cache_kernelIfhL18Fp8KVCacheDataType1EEvPKT_S3_PT0_S5_PKliiiiiiff
	.p2align	8
	.type	_Z24reshape_and_cache_kernelIfhL18Fp8KVCacheDataType1EEvPKT_S3_PT0_S5_PKliiiiiiff,@function
_Z24reshape_and_cache_kernelIfhL18Fp8KVCacheDataType1EEvPKT_S3_PT0_S5_PKliiiiiiff: ; @_Z24reshape_and_cache_kernelIfhL18Fp8KVCacheDataType1EEvPKT_S3_PT0_S5_PKliiiiiiff
; %bb.0:
	s_load_b64 s[2:3], s[0:1], 0x20
	s_mov_b32 s4, ttmp9
	s_mov_b32 s5, 0
	s_delay_alu instid0(SALU_CYCLE_1)
	s_lshl_b64 s[6:7], s[4:5], 3
	s_wait_kmcnt 0x0
	s_add_nc_u64 s[2:3], s[2:3], s[6:7]
	s_load_b64 s[2:3], s[2:3], 0x0
	s_wait_kmcnt 0x0
	v_cmp_lt_i64_e64 s2, s[2:3], 0
	s_and_b32 vcc_lo, exec_lo, s2
	s_cbranch_vccnz .LBB0_10
; %bb.1:
	s_load_b32 s6, s[0:1], 0x3c
	s_wait_kmcnt 0x0
	s_abs_i32 s7, s6
	s_delay_alu instid0(SALU_CYCLE_1) | instskip(SKIP_2) | instid1(SALU_CYCLE_1)
	s_cvt_f32_u32 s2, s7
	s_sub_co_i32 s9, 0, s7
	s_wait_alu 0xfffe
	v_rcp_iflag_f32_e32 v1, s2
	s_load_b64 s[2:3], s[0:1], 0x30
	s_delay_alu instid0(TRANS32_DEP_1) | instskip(SKIP_1) | instid1(SALU_CYCLE_3)
	v_readfirstlane_b32 s8, v1
	s_mul_f32 s8, s8, 0x4f7ffffe
	s_cvt_u32_f32 s8, s8
	s_wait_kmcnt 0x0
	s_abs_i32 s10, s3
	s_delay_alu instid0(SALU_CYCLE_1) | instskip(NEXT) | instid1(SALU_CYCLE_1)
	s_mul_i32 s9, s9, s8
	s_mul_hi_u32 s9, s8, s9
	s_delay_alu instid0(SALU_CYCLE_1) | instskip(SKIP_4) | instid1(SALU_CYCLE_1)
	s_add_co_i32 s8, s8, s9
	s_xor_b32 s9, s3, s6
	s_mul_hi_u32 s8, s10, s8
	s_ashr_i32 s9, s9, 31
	s_mul_i32 s11, s8, s7
	s_sub_co_i32 s10, s10, s11
	s_add_co_i32 s11, s8, 1
	s_sub_co_i32 s12, s10, s7
	s_cmp_ge_u32 s10, s7
	s_cselect_b32 s8, s11, s8
	s_cselect_b32 s10, s12, s10
	s_add_co_i32 s11, s8, 1
	s_cmp_ge_u32 s10, s7
	s_cselect_b32 s7, s11, s8
	s_delay_alu instid0(SALU_CYCLE_1) | instskip(NEXT) | instid1(SALU_CYCLE_1)
	s_xor_b32 s7, s7, s9
	s_sub_co_i32 s12, s7, s9
	s_delay_alu instid0(SALU_CYCLE_1)
	s_mul_i32 s7, s12, s2
	s_mov_b32 s2, exec_lo
	v_cmpx_gt_i32_e64 s7, v0
	s_cbranch_execz .LBB0_10
; %bb.2:
	s_clause 0x1
	s_load_b32 s8, s[0:1], 0x28
	s_load_b64 s[18:19], s[0:1], 0x0
	s_and_b32 s2, s6, 3
	s_mov_b32 s13, 0
	s_mov_b32 s11, 0
	s_wait_kmcnt 0x0
	s_ashr_i32 s9, s8, 31
	s_delay_alu instid0(SALU_CYCLE_1) | instskip(NEXT) | instid1(SALU_CYCLE_1)
	s_mul_u64 s[4:5], s[8:9], s[4:5]
	s_lshl_b64 s[4:5], s[4:5], 2
	s_wait_alu 0xfffe
	s_cmp_eq_u32 s2, 0
	s_add_nc_u64 s[4:5], s[18:19], s[4:5]
	s_cselect_b32 s14, -1, 0
	s_cmp_lg_u32 s2, 0
	s_mov_b32 s18, 0
	s_cselect_b32 s16, -1, 0
	s_cmp_gt_i32 s6, 0
	s_mov_b32 s5, 0
	s_cselect_b32 s17, -1, 0
	s_cmp_lt_i32 s6, 1
	s_cselect_b32 s15, -1, 0
	s_abs_i32 s8, s12
	s_ashr_i32 s10, s12, 31
	s_cvt_f32_u32 s2, s8
	s_wait_alu 0xfffe
	s_delay_alu instid0(SALU_CYCLE_2) | instskip(NEXT) | instid1(TRANS32_DEP_1)
	v_rcp_iflag_f32_e32 v1, s2
	v_readfirstlane_b32 s2, v1
	s_mul_f32 s2, s2, 0x4f7ffffe
	s_wait_alu 0xfffe
	s_delay_alu instid0(SALU_CYCLE_2) | instskip(SKIP_2) | instid1(SALU_CYCLE_1)
	s_cvt_u32_f32 s9, s2
	s_sub_co_i32 s2, 0, s8
	s_wait_alu 0xfffe
	s_mul_i32 s2, s2, s9
	s_wait_alu 0xfffe
	s_mul_hi_u32 s2, s9, s2
	s_wait_alu 0xfffe
	s_add_co_i32 s9, s9, s2
	s_mov_b32 s2, 0
	v_mul_hi_u32 v1, v0, s9
	s_delay_alu instid0(VALU_DEP_1) | instskip(NEXT) | instid1(VALU_DEP_1)
	v_mul_lo_u32 v2, v1, s8
	v_sub_nc_u32_e32 v2, v0, v2
	s_delay_alu instid0(VALU_DEP_1) | instskip(SKIP_1) | instid1(VALU_DEP_2)
	v_subrev_nc_u32_e32 v4, s8, v2
	v_cmp_le_u32_e32 vcc_lo, s8, v2
	v_dual_cndmask_b32 v2, v2, v4 :: v_dual_add_nc_u32 v3, 1, v1
	s_delay_alu instid0(VALU_DEP_1) | instskip(NEXT) | instid1(VALU_DEP_2)
	v_cndmask_b32_e32 v1, v1, v3, vcc_lo
	v_cmp_le_u32_e32 vcc_lo, s8, v2
	s_delay_alu instid0(VALU_DEP_2) | instskip(SKIP_1) | instid1(VALU_DEP_1)
	v_add_nc_u32_e32 v3, 1, v1
	s_wait_alu 0xfffd
	v_cndmask_b32_e32 v1, v1, v3, vcc_lo
	s_delay_alu instid0(VALU_DEP_1) | instskip(NEXT) | instid1(VALU_DEP_1)
	v_xor_b32_e32 v1, s10, v1
	v_subrev_nc_u32_e32 v1, s10, v1
	s_delay_alu instid0(VALU_DEP_1) | instskip(SKIP_1) | instid1(VALU_DEP_2)
	v_mul_lo_u32 v2, v1, s12
	v_mul_lo_u32 v1, v1, s3
	v_sub_nc_u32_e32 v2, v0, v2
	s_delay_alu instid0(VALU_DEP_1) | instskip(NEXT) | instid1(VALU_DEP_3)
	v_mul_lo_u32 v3, v2, s6
	v_ashrrev_i32_e32 v2, 31, v1
	s_delay_alu instid0(VALU_DEP_1) | instskip(NEXT) | instid1(VALU_DEP_3)
	v_lshlrev_b64_e32 v[1:2], 2, v[1:2]
	v_ashrrev_i32_e32 v4, 31, v3
	s_delay_alu instid0(VALU_DEP_2) | instskip(NEXT) | instid1(VALU_DEP_2)
	v_add_co_u32 v1, null, s4, v1
	v_lshlrev_b64_e32 v[2:3], 2, v[3:4]
	s_delay_alu instid0(VALU_DEP_1) | instskip(NEXT) | instid1(VALU_DEP_1)
	v_add_co_u32 v1, null, v1, v2
	v_dual_mov_b32 v3, 0 :: v_dual_and_b32 v2, 15, v1
	s_delay_alu instid0(VALU_DEP_1) | instskip(SKIP_1) | instid1(SALU_CYCLE_1)
	v_cmp_ne_u64_e32 vcc_lo, 0, v[2:3]
	s_or_b32 s16, s16, vcc_lo
	s_and_saveexec_b32 s19, s16
	s_delay_alu instid0(SALU_CYCLE_1)
	s_xor_b32 s16, exec_lo, s19
	s_cbranch_execnz .LBB0_11
; %bb.3:
	s_and_not1_saveexec_b32 s16, s16
	s_cbranch_execnz .LBB0_21
.LBB0_4:
	s_or_b32 exec_lo, exec_lo, s16
	s_and_saveexec_b32 s15, s18
	s_cbranch_execnz .LBB0_22
.LBB0_5:
	s_or_b32 exec_lo, exec_lo, s15
	s_wait_alu 0xfffe
	s_and_saveexec_b32 s0, s13
	s_cbranch_execnz .LBB0_35
.LBB0_6:
	s_wait_alu 0xfffe
	s_or_b32 exec_lo, exec_lo, s0
	s_and_saveexec_b32 s0, s11
	s_wait_alu 0xfffe
	s_xor_b32 s0, exec_lo, s0
	s_cbranch_execnz .LBB0_36
.LBB0_7:
	s_wait_alu 0xfffe
	s_or_b32 exec_lo, exec_lo, s0
	s_and_saveexec_b32 s0, s2
	s_cbranch_execnz .LBB0_37
.LBB0_8:
	s_wait_alu 0xfffe
	s_or_b32 exec_lo, exec_lo, s0
	s_delay_alu instid0(SALU_CYCLE_1)
	s_and_b32 exec_lo, exec_lo, s5
.LBB0_9:
	; divergent unreachable
.LBB0_10:
	s_endpgm
.LBB0_11:
	v_sub_nc_u32_e32 v1, 0, v1
	s_mov_b32 s19, 0
	s_mov_b32 s5, exec_lo
	s_delay_alu instid0(VALU_DEP_1) | instskip(NEXT) | instid1(VALU_DEP_1)
	v_bfe_u32 v1, v1, 2, 2
	v_min_i32_e32 v1, s6, v1
	s_delay_alu instid0(VALU_DEP_1)
	v_cmpx_gt_i32_e32 1, v1
	s_wait_alu 0xfffe
	s_xor_b32 s5, exec_lo, s5
	s_cbranch_execz .LBB0_19
; %bb.12:
	v_sub_nc_u32_e32 v1, s6, v1
	s_mov_b32 s13, -1
	s_mov_b32 s20, 0
	s_mov_b32 s21, 0
	s_mov_b32 s11, exec_lo
	v_cmpx_gt_i32_e32 4, v1
	s_cbranch_execz .LBB0_18
; %bb.13:
	v_ashrrev_i32_e32 v2, 31, v1
	s_mov_b32 s18, -1
	s_mov_b32 s13, exec_lo
	s_delay_alu instid0(VALU_DEP_1) | instskip(NEXT) | instid1(VALU_DEP_1)
	v_lshrrev_b32_e32 v2, 30, v2
	v_add_nc_u32_e32 v2, v1, v2
	s_delay_alu instid0(VALU_DEP_1) | instskip(NEXT) | instid1(VALU_DEP_1)
	v_and_b32_e32 v2, -4, v2
	v_cmpx_ge_i32_e64 v2, v1
	s_cbranch_execz .LBB0_17
; %bb.14:
	s_and_b32 vcc_lo, exec_lo, s17
	s_wait_alu 0xfffe
	s_cbranch_vccnz .LBB0_39
; %bb.15:
	s_mov_b32 s17, -1
	s_mov_b32 s18, 0
.LBB0_16:
	s_delay_alu instid0(SALU_CYCLE_1)
	s_and_b32 s20, s18, exec_lo
	s_xor_b32 s18, exec_lo, -1
	s_and_b32 s19, s17, exec_lo
.LBB0_17:
	s_wait_alu 0xfffe
	s_or_b32 exec_lo, exec_lo, s13
	s_delay_alu instid0(SALU_CYCLE_1)
	s_and_b32 s21, s20, exec_lo
	s_xor_b32 s13, exec_lo, -1
	s_and_b32 s20, s18, exec_lo
	s_and_b32 s18, s19, exec_lo
.LBB0_18:
	s_wait_alu 0xfffe
	s_or_b32 exec_lo, exec_lo, s11
	s_delay_alu instid0(SALU_CYCLE_1)
	s_and_b32 s19, s21, exec_lo
	s_and_b32 s11, s13, exec_lo
	s_and_b32 s13, s20, exec_lo
	s_and_b32 s18, s18, exec_lo
.LBB0_19:
	s_wait_alu 0xfffe
	s_and_not1_saveexec_b32 s5, s5
	s_cbranch_execnz .LBB0_38
.LBB0_20:
	s_wait_alu 0xfffe
	s_or_b32 exec_lo, exec_lo, s5
	s_delay_alu instid0(SALU_CYCLE_1)
	s_and_b32 s5, s19, exec_lo
	s_and_b32 s11, s11, exec_lo
	;; [unrolled: 1-line block ×4, first 2 shown]
	s_and_not1_saveexec_b32 s16, s16
	s_cbranch_execz .LBB0_4
.LBB0_21:
	s_and_not1_b32 s17, s18, exec_lo
	s_and_b32 s15, s15, exec_lo
	s_mov_b32 s2, exec_lo
	s_or_b32 s18, s17, s15
	s_or_b32 exec_lo, exec_lo, s16
	s_and_saveexec_b32 s15, s18
	s_cbranch_execz .LBB0_5
.LBB0_22:
	s_load_b32 s0, s[0:1], 0x54
	s_mov_b32 s16, s13
	s_mov_b32 s17, s11
	s_wait_kmcnt 0x0
	s_and_b32 s1, s0, 0xffff
	s_mov_b32 s0, exec_lo
	v_add_nc_u32_e32 v0, s1, v0
	s_delay_alu instid0(VALU_DEP_1)
	v_cmpx_gt_u32_e64 s7, v0
	s_cbranch_execz .LBB0_34
; %bb.23:
	v_mov_b32_e32 v2, 0
	s_mov_b32 s16, 0
	s_sub_co_i32 s17, 0, s12
	s_xor_b32 s18, s14, -1
                                        ; implicit-def: $sgpr14
                                        ; implicit-def: $sgpr12
                                        ; implicit-def: $sgpr19
	s_branch .LBB0_25
.LBB0_24:                               ;   in Loop: Header=BB0_25 Depth=1
	s_or_b32 exec_lo, exec_lo, s22
	s_xor_b32 s20, s20, -1
	s_and_b32 s21, exec_lo, s21
	s_delay_alu instid0(SALU_CYCLE_1)
	s_or_b32 s16, s21, s16
	s_wait_alu 0xfffe
	s_and_not1_b32 s12, s12, exec_lo
	s_and_b32 s21, s19, exec_lo
	s_and_not1_b32 s14, s14, exec_lo
	s_and_b32 s20, s20, exec_lo
	s_wait_alu 0xfffe
	s_or_b32 s12, s12, s21
	s_or_b32 s14, s14, s20
	s_and_not1_b32 exec_lo, exec_lo, s16
	s_cbranch_execz .LBB0_31
.LBB0_25:                               ; =>This Inner Loop Header: Depth=1
	v_sub_nc_u32_e32 v1, 0, v0
	s_mov_b32 s23, -1
                                        ; implicit-def: $sgpr20
                                        ; implicit-def: $sgpr22
	s_delay_alu instid0(VALU_DEP_1) | instskip(NEXT) | instid1(VALU_DEP_1)
	v_max_i32_e32 v1, v0, v1
	v_mul_hi_u32 v3, v1, s9
	s_delay_alu instid0(VALU_DEP_1) | instskip(NEXT) | instid1(VALU_DEP_1)
	v_mul_lo_u32 v4, v3, s8
	v_sub_nc_u32_e32 v1, v1, v4
	s_delay_alu instid0(VALU_DEP_1) | instskip(SKIP_2) | instid1(VALU_DEP_2)
	v_subrev_nc_u32_e32 v5, s8, v1
	v_cmp_le_u32_e32 vcc_lo, s8, v1
	s_wait_alu 0xfffd
	v_dual_cndmask_b32 v1, v1, v5 :: v_dual_add_nc_u32 v4, 1, v3
	s_delay_alu instid0(VALU_DEP_1) | instskip(SKIP_1) | instid1(VALU_DEP_3)
	v_cndmask_b32_e32 v3, v3, v4, vcc_lo
	v_ashrrev_i32_e32 v4, 31, v0
	v_cmp_le_u32_e32 vcc_lo, s8, v1
	s_delay_alu instid0(VALU_DEP_3) | instskip(NEXT) | instid1(VALU_DEP_3)
	v_add_nc_u32_e32 v5, 1, v3
	v_xor_b32_e32 v4, s10, v4
	s_wait_alu 0xfffd
	s_delay_alu instid0(VALU_DEP_2) | instskip(NEXT) | instid1(VALU_DEP_1)
	v_cndmask_b32_e32 v1, v3, v5, vcc_lo
	v_xor_b32_e32 v1, v1, v4
	s_delay_alu instid0(VALU_DEP_1) | instskip(NEXT) | instid1(VALU_DEP_1)
	v_sub_nc_u32_e32 v1, v1, v4
	v_mad_co_u64_u32 v[3:4], null, s17, v1, v[0:1]
	v_mul_lo_u32 v4, v1, s3
	s_delay_alu instid0(VALU_DEP_2) | instskip(NEXT) | instid1(VALU_DEP_2)
	v_mul_lo_u32 v6, v3, s6
	v_ashrrev_i32_e32 v5, 31, v4
	s_delay_alu instid0(VALU_DEP_1) | instskip(NEXT) | instid1(VALU_DEP_3)
	v_lshlrev_b64_e32 v[3:4], 2, v[4:5]
	v_ashrrev_i32_e32 v7, 31, v6
	s_delay_alu instid0(VALU_DEP_2) | instskip(NEXT) | instid1(VALU_DEP_2)
	v_add_co_u32 v1, null, s4, v3
	v_lshlrev_b64_e32 v[4:5], 2, v[6:7]
	s_delay_alu instid0(VALU_DEP_1) | instskip(NEXT) | instid1(VALU_DEP_1)
	v_add_co_u32 v3, null, v1, v4
	v_and_b32_e32 v1, 15, v3
	s_delay_alu instid0(VALU_DEP_1) | instskip(SKIP_1) | instid1(SALU_CYCLE_1)
	v_cmp_ne_u64_e32 vcc_lo, 0, v[1:2]
	s_or_b32 s24, s18, vcc_lo
	s_and_saveexec_b32 s21, s24
	s_cbranch_execz .LBB0_29
; %bb.26:                               ;   in Loop: Header=BB0_25 Depth=1
	v_sub_nc_u32_e32 v1, 0, v3
	s_mov_b32 s20, -1
	s_mov_b32 s24, 0
	s_mov_b32 s22, 0
	s_mov_b32 s23, exec_lo
	v_bfe_u32 v1, v1, 2, 2
	s_delay_alu instid0(VALU_DEP_1) | instskip(NEXT) | instid1(VALU_DEP_1)
	v_min_i32_e32 v1, s6, v1
	v_sub_nc_u32_e32 v1, s6, v1
	s_delay_alu instid0(VALU_DEP_1)
	v_cmpx_gt_i32_e32 4, v1
; %bb.27:                               ;   in Loop: Header=BB0_25 Depth=1
	v_ashrrev_i32_e32 v3, 31, v1
	s_mov_b32 s22, exec_lo
	s_xor_b32 s20, exec_lo, -1
	s_delay_alu instid0(VALU_DEP_1) | instskip(NEXT) | instid1(VALU_DEP_1)
	v_lshrrev_b32_e32 v3, 30, v3
	v_add_nc_u32_e32 v3, v1, v3
	s_delay_alu instid0(VALU_DEP_1) | instskip(NEXT) | instid1(VALU_DEP_1)
	v_and_b32_e32 v3, -4, v3
	v_cmp_ge_i32_e32 vcc_lo, v3, v1
	s_and_b32 s24, vcc_lo, exec_lo
; %bb.28:                               ;   in Loop: Header=BB0_25 Depth=1
	s_or_b32 exec_lo, exec_lo, s23
	s_delay_alu instid0(SALU_CYCLE_1)
	s_or_not1_b32 s23, s24, exec_lo
.LBB0_29:                               ;   in Loop: Header=BB0_25 Depth=1
	s_or_b32 exec_lo, exec_lo, s21
	s_delay_alu instid0(SALU_CYCLE_1)
	s_and_not1_b32 s19, s19, exec_lo
	s_and_b32 s22, s22, exec_lo
	s_mov_b32 s21, -1
	s_or_b32 s19, s19, s22
	s_and_saveexec_b32 s22, s23
	s_cbranch_execz .LBB0_24
; %bb.30:                               ;   in Loop: Header=BB0_25 Depth=1
	v_add_nc_u32_e32 v0, s1, v0
	s_and_not1_b32 s19, s19, exec_lo
	s_and_not1_b32 s20, s20, exec_lo
	s_delay_alu instid0(VALU_DEP_1)
	v_cmp_le_i32_e32 vcc_lo, s7, v0
	s_or_not1_b32 s21, vcc_lo, exec_lo
	s_branch .LBB0_24
.LBB0_31:
	s_or_b32 exec_lo, exec_lo, s16
	s_mov_b32 s3, -1
	s_mov_b32 s1, s13
	s_and_saveexec_b32 s4, s14
	s_wait_alu 0xfffe
	s_xor_b32 s4, exec_lo, s4
; %bb.32:
	s_and_not1_b32 s1, s13, exec_lo
	s_and_b32 s6, s12, exec_lo
	s_xor_b32 s3, exec_lo, -1
	s_wait_alu 0xfffe
	s_or_b32 s1, s1, s6
; %bb.33:
	s_or_b32 exec_lo, exec_lo, s4
	s_delay_alu instid0(SALU_CYCLE_1)
	s_and_not1_b32 s4, s11, exec_lo
	s_and_b32 s3, s3, exec_lo
	s_and_not1_b32 s6, s13, exec_lo
	s_wait_alu 0xfffe
	s_and_b32 s1, s1, exec_lo
	s_or_b32 s17, s4, s3
	s_wait_alu 0xfffe
	s_or_b32 s16, s6, s1
.LBB0_34:
	s_or_b32 exec_lo, exec_lo, s0
	s_delay_alu instid0(SALU_CYCLE_1)
	s_and_not1_b32 s0, s11, exec_lo
	s_and_b32 s1, s17, exec_lo
	s_and_not1_b32 s3, s13, exec_lo
	s_wait_alu 0xfffe
	s_and_b32 s4, s16, exec_lo
	s_and_not1_b32 s2, s2, exec_lo
	s_or_b32 s11, s0, s1
	s_wait_alu 0xfffe
	s_or_b32 s13, s3, s4
	s_or_b32 exec_lo, exec_lo, s15
	s_wait_alu 0xfffe
	s_and_saveexec_b32 s0, s13
	s_cbranch_execz .LBB0_6
.LBB0_35:
	s_or_b32 s5, s5, exec_lo
	s_trap 2
	s_wait_alu 0xfffe
	s_or_b32 exec_lo, exec_lo, s0
	s_and_saveexec_b32 s0, s11
	s_wait_alu 0xfffe
	s_xor_b32 s0, exec_lo, s0
	s_cbranch_execz .LBB0_7
.LBB0_36:
	s_or_b32 s5, s5, exec_lo
	s_trap 2
	s_wait_alu 0xfffe
	s_or_b32 exec_lo, exec_lo, s0
	s_and_saveexec_b32 s0, s2
	s_cbranch_execz .LBB0_8
.LBB0_37:
	s_or_b32 s5, s5, exec_lo
	s_trap 2
	s_wait_alu 0xfffe
	s_or_b32 exec_lo, exec_lo, s0
	s_delay_alu instid0(SALU_CYCLE_1)
	s_and_b32 exec_lo, exec_lo, s5
	s_cbranch_execnz .LBB0_9
	s_branch .LBB0_10
.LBB0_38:
	s_or_b32 s19, s19, exec_lo
	s_trap 2
	s_branch .LBB0_20
.LBB0_39:
	s_mov_b32 s17, 0
	s_trap 2
	s_branch .LBB0_16
	.section	.rodata,"a",@progbits
	.p2align	6, 0x0
	.amdhsa_kernel _Z24reshape_and_cache_kernelIfhL18Fp8KVCacheDataType1EEvPKT_S3_PT0_S5_PKliiiiiiff
		.amdhsa_group_segment_fixed_size 0
		.amdhsa_private_segment_fixed_size 0
		.amdhsa_kernarg_size 328
		.amdhsa_user_sgpr_count 2
		.amdhsa_user_sgpr_dispatch_ptr 0
		.amdhsa_user_sgpr_queue_ptr 0
		.amdhsa_user_sgpr_kernarg_segment_ptr 1
		.amdhsa_user_sgpr_dispatch_id 0
		.amdhsa_user_sgpr_private_segment_size 0
		.amdhsa_wavefront_size32 1
		.amdhsa_uses_dynamic_stack 0
		.amdhsa_enable_private_segment 0
		.amdhsa_system_sgpr_workgroup_id_x 1
		.amdhsa_system_sgpr_workgroup_id_y 0
		.amdhsa_system_sgpr_workgroup_id_z 0
		.amdhsa_system_sgpr_workgroup_info 0
		.amdhsa_system_vgpr_workitem_id 0
		.amdhsa_next_free_vgpr 8
		.amdhsa_next_free_sgpr 25
		.amdhsa_reserve_vcc 1
		.amdhsa_float_round_mode_32 0
		.amdhsa_float_round_mode_16_64 0
		.amdhsa_float_denorm_mode_32 3
		.amdhsa_float_denorm_mode_16_64 3
		.amdhsa_fp16_overflow 0
		.amdhsa_workgroup_processor_mode 1
		.amdhsa_memory_ordered 1
		.amdhsa_forward_progress 1
		.amdhsa_inst_pref_size 14
		.amdhsa_round_robin_scheduling 0
		.amdhsa_exception_fp_ieee_invalid_op 0
		.amdhsa_exception_fp_denorm_src 0
		.amdhsa_exception_fp_ieee_div_zero 0
		.amdhsa_exception_fp_ieee_overflow 0
		.amdhsa_exception_fp_ieee_underflow 0
		.amdhsa_exception_fp_ieee_inexact 0
		.amdhsa_exception_int_div_zero 0
	.end_amdhsa_kernel
	.section	.text._Z24reshape_and_cache_kernelIfhL18Fp8KVCacheDataType1EEvPKT_S3_PT0_S5_PKliiiiiiff,"axG",@progbits,_Z24reshape_and_cache_kernelIfhL18Fp8KVCacheDataType1EEvPKT_S3_PT0_S5_PKliiiiiiff,comdat
.Lfunc_end0:
	.size	_Z24reshape_and_cache_kernelIfhL18Fp8KVCacheDataType1EEvPKT_S3_PT0_S5_PKliiiiiiff, .Lfunc_end0-_Z24reshape_and_cache_kernelIfhL18Fp8KVCacheDataType1EEvPKT_S3_PT0_S5_PKliiiiiiff
                                        ; -- End function
	.set _Z24reshape_and_cache_kernelIfhL18Fp8KVCacheDataType1EEvPKT_S3_PT0_S5_PKliiiiiiff.num_vgpr, 8
	.set _Z24reshape_and_cache_kernelIfhL18Fp8KVCacheDataType1EEvPKT_S3_PT0_S5_PKliiiiiiff.num_agpr, 0
	.set _Z24reshape_and_cache_kernelIfhL18Fp8KVCacheDataType1EEvPKT_S3_PT0_S5_PKliiiiiiff.numbered_sgpr, 25
	.set _Z24reshape_and_cache_kernelIfhL18Fp8KVCacheDataType1EEvPKT_S3_PT0_S5_PKliiiiiiff.num_named_barrier, 0
	.set _Z24reshape_and_cache_kernelIfhL18Fp8KVCacheDataType1EEvPKT_S3_PT0_S5_PKliiiiiiff.private_seg_size, 0
	.set _Z24reshape_and_cache_kernelIfhL18Fp8KVCacheDataType1EEvPKT_S3_PT0_S5_PKliiiiiiff.uses_vcc, 1
	.set _Z24reshape_and_cache_kernelIfhL18Fp8KVCacheDataType1EEvPKT_S3_PT0_S5_PKliiiiiiff.uses_flat_scratch, 0
	.set _Z24reshape_and_cache_kernelIfhL18Fp8KVCacheDataType1EEvPKT_S3_PT0_S5_PKliiiiiiff.has_dyn_sized_stack, 0
	.set _Z24reshape_and_cache_kernelIfhL18Fp8KVCacheDataType1EEvPKT_S3_PT0_S5_PKliiiiiiff.has_recursion, 0
	.set _Z24reshape_and_cache_kernelIfhL18Fp8KVCacheDataType1EEvPKT_S3_PT0_S5_PKliiiiiiff.has_indirect_call, 0
	.section	.AMDGPU.csdata,"",@progbits
; Kernel info:
; codeLenInByte = 1764
; TotalNumSgprs: 27
; NumVgprs: 8
; ScratchSize: 0
; MemoryBound: 0
; FloatMode: 240
; IeeeMode: 1
; LDSByteSize: 0 bytes/workgroup (compile time only)
; SGPRBlocks: 0
; VGPRBlocks: 0
; NumSGPRsForWavesPerEU: 27
; NumVGPRsForWavesPerEU: 8
; Occupancy: 16
; WaveLimiterHint : 0
; COMPUTE_PGM_RSRC2:SCRATCH_EN: 0
; COMPUTE_PGM_RSRC2:USER_SGPR: 2
; COMPUTE_PGM_RSRC2:TRAP_HANDLER: 0
; COMPUTE_PGM_RSRC2:TGID_X_EN: 1
; COMPUTE_PGM_RSRC2:TGID_Y_EN: 0
; COMPUTE_PGM_RSRC2:TGID_Z_EN: 0
; COMPUTE_PGM_RSRC2:TIDIG_COMP_CNT: 0
	.section	.text._Z24reshape_and_cache_kernelI14__hip_bfloat16hL18Fp8KVCacheDataType1EEvPKT_S4_PT0_S6_PKliiiiiiff,"axG",@progbits,_Z24reshape_and_cache_kernelI14__hip_bfloat16hL18Fp8KVCacheDataType1EEvPKT_S4_PT0_S6_PKliiiiiiff,comdat
	.protected	_Z24reshape_and_cache_kernelI14__hip_bfloat16hL18Fp8KVCacheDataType1EEvPKT_S4_PT0_S6_PKliiiiiiff ; -- Begin function _Z24reshape_and_cache_kernelI14__hip_bfloat16hL18Fp8KVCacheDataType1EEvPKT_S4_PT0_S6_PKliiiiiiff
	.globl	_Z24reshape_and_cache_kernelI14__hip_bfloat16hL18Fp8KVCacheDataType1EEvPKT_S4_PT0_S6_PKliiiiiiff
	.p2align	8
	.type	_Z24reshape_and_cache_kernelI14__hip_bfloat16hL18Fp8KVCacheDataType1EEvPKT_S4_PT0_S6_PKliiiiiiff,@function
_Z24reshape_and_cache_kernelI14__hip_bfloat16hL18Fp8KVCacheDataType1EEvPKT_S4_PT0_S6_PKliiiiiiff: ; @_Z24reshape_and_cache_kernelI14__hip_bfloat16hL18Fp8KVCacheDataType1EEvPKT_S4_PT0_S6_PKliiiiiiff
; %bb.0:
	s_load_b64 s[2:3], s[0:1], 0x20
	s_mov_b32 s4, ttmp9
	s_mov_b32 s5, 0
	s_delay_alu instid0(SALU_CYCLE_1)
	s_lshl_b64 s[6:7], s[4:5], 3
	s_wait_kmcnt 0x0
	s_add_nc_u64 s[2:3], s[2:3], s[6:7]
	s_load_b64 s[2:3], s[2:3], 0x0
	s_wait_kmcnt 0x0
	v_cmp_lt_i64_e64 s2, s[2:3], 0
	s_and_b32 vcc_lo, exec_lo, s2
	s_cbranch_vccnz .LBB1_10
; %bb.1:
	s_load_b32 s6, s[0:1], 0x3c
	s_wait_kmcnt 0x0
	s_abs_i32 s7, s6
	s_delay_alu instid0(SALU_CYCLE_1) | instskip(SKIP_2) | instid1(SALU_CYCLE_1)
	s_cvt_f32_u32 s2, s7
	s_sub_co_i32 s9, 0, s7
	s_wait_alu 0xfffe
	v_rcp_iflag_f32_e32 v1, s2
	s_load_b64 s[2:3], s[0:1], 0x30
	s_delay_alu instid0(TRANS32_DEP_1) | instskip(SKIP_1) | instid1(SALU_CYCLE_3)
	v_readfirstlane_b32 s8, v1
	s_mul_f32 s8, s8, 0x4f7ffffe
	s_cvt_u32_f32 s8, s8
	s_wait_kmcnt 0x0
	s_abs_i32 s10, s3
	s_delay_alu instid0(SALU_CYCLE_1) | instskip(NEXT) | instid1(SALU_CYCLE_1)
	s_mul_i32 s9, s9, s8
	s_mul_hi_u32 s9, s8, s9
	s_delay_alu instid0(SALU_CYCLE_1) | instskip(SKIP_4) | instid1(SALU_CYCLE_1)
	s_add_co_i32 s8, s8, s9
	s_xor_b32 s9, s3, s6
	s_mul_hi_u32 s8, s10, s8
	s_ashr_i32 s9, s9, 31
	s_mul_i32 s11, s8, s7
	s_sub_co_i32 s10, s10, s11
	s_add_co_i32 s11, s8, 1
	s_sub_co_i32 s12, s10, s7
	s_cmp_ge_u32 s10, s7
	s_cselect_b32 s8, s11, s8
	s_cselect_b32 s10, s12, s10
	s_add_co_i32 s11, s8, 1
	s_cmp_ge_u32 s10, s7
	s_cselect_b32 s7, s11, s8
	s_delay_alu instid0(SALU_CYCLE_1) | instskip(NEXT) | instid1(SALU_CYCLE_1)
	s_xor_b32 s7, s7, s9
	s_sub_co_i32 s12, s7, s9
	s_delay_alu instid0(SALU_CYCLE_1)
	s_mul_i32 s7, s12, s2
	s_mov_b32 s2, exec_lo
	v_cmpx_gt_i32_e64 s7, v0
	s_cbranch_execz .LBB1_10
; %bb.2:
	s_clause 0x1
	s_load_b32 s8, s[0:1], 0x28
	s_load_b64 s[18:19], s[0:1], 0x0
	s_and_b32 s2, s6, 7
	s_mov_b32 s13, 0
	s_mov_b32 s11, 0
	s_wait_kmcnt 0x0
	s_ashr_i32 s9, s8, 31
	s_delay_alu instid0(SALU_CYCLE_1) | instskip(NEXT) | instid1(SALU_CYCLE_1)
	s_mul_u64 s[4:5], s[8:9], s[4:5]
	s_lshl_b64 s[4:5], s[4:5], 1
	s_wait_alu 0xfffe
	s_cmp_eq_u32 s2, 0
	s_add_nc_u64 s[4:5], s[18:19], s[4:5]
	s_cselect_b32 s14, -1, 0
	s_cmp_lg_u32 s2, 0
	s_mov_b32 s18, 0
	s_cselect_b32 s16, -1, 0
	s_cmp_gt_i32 s6, 0
	s_mov_b32 s5, 0
	s_cselect_b32 s17, -1, 0
	s_cmp_lt_i32 s6, 1
	s_cselect_b32 s15, -1, 0
	s_abs_i32 s8, s12
	s_ashr_i32 s10, s12, 31
	s_cvt_f32_u32 s2, s8
	s_wait_alu 0xfffe
	s_delay_alu instid0(SALU_CYCLE_2) | instskip(NEXT) | instid1(TRANS32_DEP_1)
	v_rcp_iflag_f32_e32 v1, s2
	v_readfirstlane_b32 s2, v1
	s_mul_f32 s2, s2, 0x4f7ffffe
	s_wait_alu 0xfffe
	s_delay_alu instid0(SALU_CYCLE_2) | instskip(SKIP_2) | instid1(SALU_CYCLE_1)
	s_cvt_u32_f32 s9, s2
	s_sub_co_i32 s2, 0, s8
	s_wait_alu 0xfffe
	s_mul_i32 s2, s2, s9
	s_wait_alu 0xfffe
	s_mul_hi_u32 s2, s9, s2
	s_wait_alu 0xfffe
	s_add_co_i32 s9, s9, s2
	s_mov_b32 s2, 0
	v_mul_hi_u32 v1, v0, s9
	s_delay_alu instid0(VALU_DEP_1) | instskip(NEXT) | instid1(VALU_DEP_1)
	v_mul_lo_u32 v2, v1, s8
	v_sub_nc_u32_e32 v2, v0, v2
	s_delay_alu instid0(VALU_DEP_1) | instskip(SKIP_1) | instid1(VALU_DEP_2)
	v_subrev_nc_u32_e32 v4, s8, v2
	v_cmp_le_u32_e32 vcc_lo, s8, v2
	v_dual_cndmask_b32 v2, v2, v4 :: v_dual_add_nc_u32 v3, 1, v1
	s_delay_alu instid0(VALU_DEP_1) | instskip(NEXT) | instid1(VALU_DEP_2)
	v_cndmask_b32_e32 v1, v1, v3, vcc_lo
	v_cmp_le_u32_e32 vcc_lo, s8, v2
	s_delay_alu instid0(VALU_DEP_2) | instskip(SKIP_1) | instid1(VALU_DEP_1)
	v_add_nc_u32_e32 v3, 1, v1
	s_wait_alu 0xfffd
	v_cndmask_b32_e32 v1, v1, v3, vcc_lo
	s_delay_alu instid0(VALU_DEP_1) | instskip(NEXT) | instid1(VALU_DEP_1)
	v_xor_b32_e32 v1, s10, v1
	v_subrev_nc_u32_e32 v1, s10, v1
	s_delay_alu instid0(VALU_DEP_1) | instskip(SKIP_1) | instid1(VALU_DEP_2)
	v_mul_lo_u32 v2, v1, s12
	v_mul_lo_u32 v1, v1, s3
	v_sub_nc_u32_e32 v2, v0, v2
	s_delay_alu instid0(VALU_DEP_1) | instskip(NEXT) | instid1(VALU_DEP_3)
	v_mul_lo_u32 v3, v2, s6
	v_ashrrev_i32_e32 v2, 31, v1
	s_delay_alu instid0(VALU_DEP_1) | instskip(NEXT) | instid1(VALU_DEP_3)
	v_lshlrev_b64_e32 v[1:2], 1, v[1:2]
	v_ashrrev_i32_e32 v4, 31, v3
	s_delay_alu instid0(VALU_DEP_2) | instskip(NEXT) | instid1(VALU_DEP_2)
	v_add_co_u32 v1, null, s4, v1
	v_lshlrev_b64_e32 v[2:3], 1, v[3:4]
	s_delay_alu instid0(VALU_DEP_1) | instskip(NEXT) | instid1(VALU_DEP_1)
	v_add_co_u32 v1, null, v1, v2
	v_dual_mov_b32 v3, 0 :: v_dual_and_b32 v2, 15, v1
	s_delay_alu instid0(VALU_DEP_1) | instskip(SKIP_1) | instid1(SALU_CYCLE_1)
	v_cmp_ne_u64_e32 vcc_lo, 0, v[2:3]
	s_or_b32 s16, s16, vcc_lo
	s_and_saveexec_b32 s19, s16
	s_delay_alu instid0(SALU_CYCLE_1)
	s_xor_b32 s16, exec_lo, s19
	s_cbranch_execnz .LBB1_11
; %bb.3:
	s_and_not1_saveexec_b32 s16, s16
	s_cbranch_execnz .LBB1_21
.LBB1_4:
	s_or_b32 exec_lo, exec_lo, s16
	s_and_saveexec_b32 s15, s18
	s_cbranch_execnz .LBB1_22
.LBB1_5:
	s_or_b32 exec_lo, exec_lo, s15
	s_wait_alu 0xfffe
	s_and_saveexec_b32 s0, s13
	s_cbranch_execnz .LBB1_35
.LBB1_6:
	s_wait_alu 0xfffe
	s_or_b32 exec_lo, exec_lo, s0
	s_and_saveexec_b32 s0, s11
	s_wait_alu 0xfffe
	s_xor_b32 s0, exec_lo, s0
	s_cbranch_execnz .LBB1_36
.LBB1_7:
	s_wait_alu 0xfffe
	s_or_b32 exec_lo, exec_lo, s0
	s_and_saveexec_b32 s0, s2
	s_cbranch_execnz .LBB1_37
.LBB1_8:
	s_wait_alu 0xfffe
	s_or_b32 exec_lo, exec_lo, s0
	s_delay_alu instid0(SALU_CYCLE_1)
	s_and_b32 exec_lo, exec_lo, s5
.LBB1_9:
	; divergent unreachable
.LBB1_10:
	s_endpgm
.LBB1_11:
	v_sub_nc_u32_e32 v1, 0, v1
	s_mov_b32 s19, 0
	s_mov_b32 s5, exec_lo
	s_delay_alu instid0(VALU_DEP_1) | instskip(NEXT) | instid1(VALU_DEP_1)
	v_bfe_u32 v1, v1, 1, 3
	v_min_i32_e32 v1, s6, v1
	s_delay_alu instid0(VALU_DEP_1)
	v_cmpx_gt_i32_e32 1, v1
	s_wait_alu 0xfffe
	s_xor_b32 s5, exec_lo, s5
	s_cbranch_execz .LBB1_19
; %bb.12:
	v_sub_nc_u32_e32 v1, s6, v1
	s_mov_b32 s13, -1
	s_mov_b32 s20, 0
	s_mov_b32 s21, 0
	s_mov_b32 s11, exec_lo
	v_cmpx_gt_i32_e32 8, v1
	s_cbranch_execz .LBB1_18
; %bb.13:
	v_ashrrev_i32_e32 v2, 31, v1
	s_mov_b32 s18, -1
	s_mov_b32 s13, exec_lo
	s_delay_alu instid0(VALU_DEP_1) | instskip(NEXT) | instid1(VALU_DEP_1)
	v_lshrrev_b32_e32 v2, 29, v2
	v_add_nc_u32_e32 v2, v1, v2
	s_delay_alu instid0(VALU_DEP_1) | instskip(NEXT) | instid1(VALU_DEP_1)
	v_and_b32_e32 v2, -8, v2
	v_cmpx_ge_i32_e64 v2, v1
	s_cbranch_execz .LBB1_17
; %bb.14:
	s_and_b32 vcc_lo, exec_lo, s17
	s_wait_alu 0xfffe
	s_cbranch_vccnz .LBB1_39
; %bb.15:
	s_mov_b32 s17, -1
	s_mov_b32 s18, 0
.LBB1_16:
	s_delay_alu instid0(SALU_CYCLE_1)
	s_and_b32 s20, s18, exec_lo
	s_xor_b32 s18, exec_lo, -1
	s_and_b32 s19, s17, exec_lo
.LBB1_17:
	s_wait_alu 0xfffe
	s_or_b32 exec_lo, exec_lo, s13
	s_delay_alu instid0(SALU_CYCLE_1)
	s_and_b32 s21, s20, exec_lo
	s_xor_b32 s13, exec_lo, -1
	s_and_b32 s20, s18, exec_lo
	s_and_b32 s18, s19, exec_lo
.LBB1_18:
	s_wait_alu 0xfffe
	s_or_b32 exec_lo, exec_lo, s11
	s_delay_alu instid0(SALU_CYCLE_1)
	s_and_b32 s19, s21, exec_lo
	s_and_b32 s11, s13, exec_lo
	;; [unrolled: 1-line block ×4, first 2 shown]
.LBB1_19:
	s_wait_alu 0xfffe
	s_and_not1_saveexec_b32 s5, s5
	s_cbranch_execnz .LBB1_38
.LBB1_20:
	s_wait_alu 0xfffe
	s_or_b32 exec_lo, exec_lo, s5
	s_delay_alu instid0(SALU_CYCLE_1)
	s_and_b32 s5, s19, exec_lo
	s_and_b32 s11, s11, exec_lo
	;; [unrolled: 1-line block ×4, first 2 shown]
	s_and_not1_saveexec_b32 s16, s16
	s_cbranch_execz .LBB1_4
.LBB1_21:
	s_and_not1_b32 s17, s18, exec_lo
	s_and_b32 s15, s15, exec_lo
	s_mov_b32 s2, exec_lo
	s_or_b32 s18, s17, s15
	s_or_b32 exec_lo, exec_lo, s16
	s_and_saveexec_b32 s15, s18
	s_cbranch_execz .LBB1_5
.LBB1_22:
	s_load_b32 s0, s[0:1], 0x54
	s_mov_b32 s16, s13
	s_mov_b32 s17, s11
	s_wait_kmcnt 0x0
	s_and_b32 s1, s0, 0xffff
	s_mov_b32 s0, exec_lo
	v_add_nc_u32_e32 v0, s1, v0
	s_delay_alu instid0(VALU_DEP_1)
	v_cmpx_gt_u32_e64 s7, v0
	s_cbranch_execz .LBB1_34
; %bb.23:
	v_mov_b32_e32 v2, 0
	s_mov_b32 s16, 0
	s_sub_co_i32 s17, 0, s12
	s_xor_b32 s18, s14, -1
                                        ; implicit-def: $sgpr14
                                        ; implicit-def: $sgpr12
                                        ; implicit-def: $sgpr19
	s_branch .LBB1_25
.LBB1_24:                               ;   in Loop: Header=BB1_25 Depth=1
	s_or_b32 exec_lo, exec_lo, s22
	s_xor_b32 s20, s20, -1
	s_and_b32 s21, exec_lo, s21
	s_delay_alu instid0(SALU_CYCLE_1)
	s_or_b32 s16, s21, s16
	s_wait_alu 0xfffe
	s_and_not1_b32 s12, s12, exec_lo
	s_and_b32 s21, s19, exec_lo
	s_and_not1_b32 s14, s14, exec_lo
	s_and_b32 s20, s20, exec_lo
	s_wait_alu 0xfffe
	s_or_b32 s12, s12, s21
	s_or_b32 s14, s14, s20
	s_and_not1_b32 exec_lo, exec_lo, s16
	s_cbranch_execz .LBB1_31
.LBB1_25:                               ; =>This Inner Loop Header: Depth=1
	v_sub_nc_u32_e32 v1, 0, v0
	s_mov_b32 s23, -1
                                        ; implicit-def: $sgpr20
                                        ; implicit-def: $sgpr22
	s_delay_alu instid0(VALU_DEP_1) | instskip(NEXT) | instid1(VALU_DEP_1)
	v_max_i32_e32 v1, v0, v1
	v_mul_hi_u32 v3, v1, s9
	s_delay_alu instid0(VALU_DEP_1) | instskip(NEXT) | instid1(VALU_DEP_1)
	v_mul_lo_u32 v4, v3, s8
	v_sub_nc_u32_e32 v1, v1, v4
	s_delay_alu instid0(VALU_DEP_1) | instskip(SKIP_2) | instid1(VALU_DEP_2)
	v_subrev_nc_u32_e32 v5, s8, v1
	v_cmp_le_u32_e32 vcc_lo, s8, v1
	s_wait_alu 0xfffd
	v_dual_cndmask_b32 v1, v1, v5 :: v_dual_add_nc_u32 v4, 1, v3
	s_delay_alu instid0(VALU_DEP_1) | instskip(SKIP_1) | instid1(VALU_DEP_3)
	v_cndmask_b32_e32 v3, v3, v4, vcc_lo
	v_ashrrev_i32_e32 v4, 31, v0
	v_cmp_le_u32_e32 vcc_lo, s8, v1
	s_delay_alu instid0(VALU_DEP_3) | instskip(NEXT) | instid1(VALU_DEP_3)
	v_add_nc_u32_e32 v5, 1, v3
	v_xor_b32_e32 v4, s10, v4
	s_wait_alu 0xfffd
	s_delay_alu instid0(VALU_DEP_2) | instskip(NEXT) | instid1(VALU_DEP_1)
	v_cndmask_b32_e32 v1, v3, v5, vcc_lo
	v_xor_b32_e32 v1, v1, v4
	s_delay_alu instid0(VALU_DEP_1) | instskip(NEXT) | instid1(VALU_DEP_1)
	v_sub_nc_u32_e32 v1, v1, v4
	v_mad_co_u64_u32 v[3:4], null, s17, v1, v[0:1]
	v_mul_lo_u32 v4, v1, s3
	s_delay_alu instid0(VALU_DEP_2) | instskip(NEXT) | instid1(VALU_DEP_2)
	v_mul_lo_u32 v6, v3, s6
	v_ashrrev_i32_e32 v5, 31, v4
	s_delay_alu instid0(VALU_DEP_1) | instskip(NEXT) | instid1(VALU_DEP_3)
	v_lshlrev_b64_e32 v[3:4], 1, v[4:5]
	v_ashrrev_i32_e32 v7, 31, v6
	s_delay_alu instid0(VALU_DEP_2) | instskip(NEXT) | instid1(VALU_DEP_2)
	v_add_co_u32 v1, null, s4, v3
	v_lshlrev_b64_e32 v[4:5], 1, v[6:7]
	s_delay_alu instid0(VALU_DEP_1) | instskip(NEXT) | instid1(VALU_DEP_1)
	v_add_co_u32 v3, null, v1, v4
	v_and_b32_e32 v1, 15, v3
	s_delay_alu instid0(VALU_DEP_1) | instskip(SKIP_1) | instid1(SALU_CYCLE_1)
	v_cmp_ne_u64_e32 vcc_lo, 0, v[1:2]
	s_or_b32 s24, s18, vcc_lo
	s_and_saveexec_b32 s21, s24
	s_cbranch_execz .LBB1_29
; %bb.26:                               ;   in Loop: Header=BB1_25 Depth=1
	v_sub_nc_u32_e32 v1, 0, v3
	s_mov_b32 s20, -1
	s_mov_b32 s24, 0
	s_mov_b32 s22, 0
	s_mov_b32 s23, exec_lo
	v_bfe_u32 v1, v1, 1, 3
	s_delay_alu instid0(VALU_DEP_1) | instskip(NEXT) | instid1(VALU_DEP_1)
	v_min_i32_e32 v1, s6, v1
	v_sub_nc_u32_e32 v1, s6, v1
	s_delay_alu instid0(VALU_DEP_1)
	v_cmpx_gt_i32_e32 8, v1
; %bb.27:                               ;   in Loop: Header=BB1_25 Depth=1
	v_ashrrev_i32_e32 v3, 31, v1
	s_mov_b32 s22, exec_lo
	s_xor_b32 s20, exec_lo, -1
	s_delay_alu instid0(VALU_DEP_1) | instskip(NEXT) | instid1(VALU_DEP_1)
	v_lshrrev_b32_e32 v3, 29, v3
	v_add_nc_u32_e32 v3, v1, v3
	s_delay_alu instid0(VALU_DEP_1) | instskip(NEXT) | instid1(VALU_DEP_1)
	v_and_b32_e32 v3, -8, v3
	v_cmp_ge_i32_e32 vcc_lo, v3, v1
	s_and_b32 s24, vcc_lo, exec_lo
; %bb.28:                               ;   in Loop: Header=BB1_25 Depth=1
	s_or_b32 exec_lo, exec_lo, s23
	s_delay_alu instid0(SALU_CYCLE_1)
	s_or_not1_b32 s23, s24, exec_lo
.LBB1_29:                               ;   in Loop: Header=BB1_25 Depth=1
	s_or_b32 exec_lo, exec_lo, s21
	s_delay_alu instid0(SALU_CYCLE_1)
	s_and_not1_b32 s19, s19, exec_lo
	s_and_b32 s22, s22, exec_lo
	s_mov_b32 s21, -1
	s_or_b32 s19, s19, s22
	s_and_saveexec_b32 s22, s23
	s_cbranch_execz .LBB1_24
; %bb.30:                               ;   in Loop: Header=BB1_25 Depth=1
	v_add_nc_u32_e32 v0, s1, v0
	s_and_not1_b32 s19, s19, exec_lo
	s_and_not1_b32 s20, s20, exec_lo
	s_delay_alu instid0(VALU_DEP_1)
	v_cmp_le_i32_e32 vcc_lo, s7, v0
	s_or_not1_b32 s21, vcc_lo, exec_lo
	s_branch .LBB1_24
.LBB1_31:
	s_or_b32 exec_lo, exec_lo, s16
	s_mov_b32 s3, -1
	s_mov_b32 s1, s13
	s_and_saveexec_b32 s4, s14
	s_wait_alu 0xfffe
	s_xor_b32 s4, exec_lo, s4
; %bb.32:
	s_and_not1_b32 s1, s13, exec_lo
	s_and_b32 s6, s12, exec_lo
	s_xor_b32 s3, exec_lo, -1
	s_wait_alu 0xfffe
	s_or_b32 s1, s1, s6
; %bb.33:
	s_or_b32 exec_lo, exec_lo, s4
	s_delay_alu instid0(SALU_CYCLE_1)
	s_and_not1_b32 s4, s11, exec_lo
	s_and_b32 s3, s3, exec_lo
	s_and_not1_b32 s6, s13, exec_lo
	s_wait_alu 0xfffe
	s_and_b32 s1, s1, exec_lo
	s_or_b32 s17, s4, s3
	s_wait_alu 0xfffe
	s_or_b32 s16, s6, s1
.LBB1_34:
	s_or_b32 exec_lo, exec_lo, s0
	s_delay_alu instid0(SALU_CYCLE_1)
	s_and_not1_b32 s0, s11, exec_lo
	s_and_b32 s1, s17, exec_lo
	s_and_not1_b32 s3, s13, exec_lo
	s_wait_alu 0xfffe
	s_and_b32 s4, s16, exec_lo
	s_and_not1_b32 s2, s2, exec_lo
	s_or_b32 s11, s0, s1
	s_wait_alu 0xfffe
	s_or_b32 s13, s3, s4
	s_or_b32 exec_lo, exec_lo, s15
	s_wait_alu 0xfffe
	s_and_saveexec_b32 s0, s13
	s_cbranch_execz .LBB1_6
.LBB1_35:
	s_or_b32 s5, s5, exec_lo
	s_trap 2
	s_wait_alu 0xfffe
	s_or_b32 exec_lo, exec_lo, s0
	s_and_saveexec_b32 s0, s11
	s_wait_alu 0xfffe
	s_xor_b32 s0, exec_lo, s0
	s_cbranch_execz .LBB1_7
.LBB1_36:
	s_or_b32 s5, s5, exec_lo
	s_trap 2
	s_wait_alu 0xfffe
	s_or_b32 exec_lo, exec_lo, s0
	s_and_saveexec_b32 s0, s2
	s_cbranch_execz .LBB1_8
.LBB1_37:
	s_or_b32 s5, s5, exec_lo
	s_trap 2
	s_wait_alu 0xfffe
	s_or_b32 exec_lo, exec_lo, s0
	s_delay_alu instid0(SALU_CYCLE_1)
	s_and_b32 exec_lo, exec_lo, s5
	s_cbranch_execnz .LBB1_9
	s_branch .LBB1_10
.LBB1_38:
	s_or_b32 s19, s19, exec_lo
	s_trap 2
	s_branch .LBB1_20
.LBB1_39:
	s_mov_b32 s17, 0
	s_trap 2
	s_branch .LBB1_16
	.section	.rodata,"a",@progbits
	.p2align	6, 0x0
	.amdhsa_kernel _Z24reshape_and_cache_kernelI14__hip_bfloat16hL18Fp8KVCacheDataType1EEvPKT_S4_PT0_S6_PKliiiiiiff
		.amdhsa_group_segment_fixed_size 0
		.amdhsa_private_segment_fixed_size 0
		.amdhsa_kernarg_size 328
		.amdhsa_user_sgpr_count 2
		.amdhsa_user_sgpr_dispatch_ptr 0
		.amdhsa_user_sgpr_queue_ptr 0
		.amdhsa_user_sgpr_kernarg_segment_ptr 1
		.amdhsa_user_sgpr_dispatch_id 0
		.amdhsa_user_sgpr_private_segment_size 0
		.amdhsa_wavefront_size32 1
		.amdhsa_uses_dynamic_stack 0
		.amdhsa_enable_private_segment 0
		.amdhsa_system_sgpr_workgroup_id_x 1
		.amdhsa_system_sgpr_workgroup_id_y 0
		.amdhsa_system_sgpr_workgroup_id_z 0
		.amdhsa_system_sgpr_workgroup_info 0
		.amdhsa_system_vgpr_workitem_id 0
		.amdhsa_next_free_vgpr 8
		.amdhsa_next_free_sgpr 25
		.amdhsa_reserve_vcc 1
		.amdhsa_float_round_mode_32 0
		.amdhsa_float_round_mode_16_64 0
		.amdhsa_float_denorm_mode_32 3
		.amdhsa_float_denorm_mode_16_64 3
		.amdhsa_fp16_overflow 0
		.amdhsa_workgroup_processor_mode 1
		.amdhsa_memory_ordered 1
		.amdhsa_forward_progress 1
		.amdhsa_inst_pref_size 14
		.amdhsa_round_robin_scheduling 0
		.amdhsa_exception_fp_ieee_invalid_op 0
		.amdhsa_exception_fp_denorm_src 0
		.amdhsa_exception_fp_ieee_div_zero 0
		.amdhsa_exception_fp_ieee_overflow 0
		.amdhsa_exception_fp_ieee_underflow 0
		.amdhsa_exception_fp_ieee_inexact 0
		.amdhsa_exception_int_div_zero 0
	.end_amdhsa_kernel
	.section	.text._Z24reshape_and_cache_kernelI14__hip_bfloat16hL18Fp8KVCacheDataType1EEvPKT_S4_PT0_S6_PKliiiiiiff,"axG",@progbits,_Z24reshape_and_cache_kernelI14__hip_bfloat16hL18Fp8KVCacheDataType1EEvPKT_S4_PT0_S6_PKliiiiiiff,comdat
.Lfunc_end1:
	.size	_Z24reshape_and_cache_kernelI14__hip_bfloat16hL18Fp8KVCacheDataType1EEvPKT_S4_PT0_S6_PKliiiiiiff, .Lfunc_end1-_Z24reshape_and_cache_kernelI14__hip_bfloat16hL18Fp8KVCacheDataType1EEvPKT_S4_PT0_S6_PKliiiiiiff
                                        ; -- End function
	.set _Z24reshape_and_cache_kernelI14__hip_bfloat16hL18Fp8KVCacheDataType1EEvPKT_S4_PT0_S6_PKliiiiiiff.num_vgpr, 8
	.set _Z24reshape_and_cache_kernelI14__hip_bfloat16hL18Fp8KVCacheDataType1EEvPKT_S4_PT0_S6_PKliiiiiiff.num_agpr, 0
	.set _Z24reshape_and_cache_kernelI14__hip_bfloat16hL18Fp8KVCacheDataType1EEvPKT_S4_PT0_S6_PKliiiiiiff.numbered_sgpr, 25
	.set _Z24reshape_and_cache_kernelI14__hip_bfloat16hL18Fp8KVCacheDataType1EEvPKT_S4_PT0_S6_PKliiiiiiff.num_named_barrier, 0
	.set _Z24reshape_and_cache_kernelI14__hip_bfloat16hL18Fp8KVCacheDataType1EEvPKT_S4_PT0_S6_PKliiiiiiff.private_seg_size, 0
	.set _Z24reshape_and_cache_kernelI14__hip_bfloat16hL18Fp8KVCacheDataType1EEvPKT_S4_PT0_S6_PKliiiiiiff.uses_vcc, 1
	.set _Z24reshape_and_cache_kernelI14__hip_bfloat16hL18Fp8KVCacheDataType1EEvPKT_S4_PT0_S6_PKliiiiiiff.uses_flat_scratch, 0
	.set _Z24reshape_and_cache_kernelI14__hip_bfloat16hL18Fp8KVCacheDataType1EEvPKT_S4_PT0_S6_PKliiiiiiff.has_dyn_sized_stack, 0
	.set _Z24reshape_and_cache_kernelI14__hip_bfloat16hL18Fp8KVCacheDataType1EEvPKT_S4_PT0_S6_PKliiiiiiff.has_recursion, 0
	.set _Z24reshape_and_cache_kernelI14__hip_bfloat16hL18Fp8KVCacheDataType1EEvPKT_S4_PT0_S6_PKliiiiiiff.has_indirect_call, 0
	.section	.AMDGPU.csdata,"",@progbits
; Kernel info:
; codeLenInByte = 1764
; TotalNumSgprs: 27
; NumVgprs: 8
; ScratchSize: 0
; MemoryBound: 0
; FloatMode: 240
; IeeeMode: 1
; LDSByteSize: 0 bytes/workgroup (compile time only)
; SGPRBlocks: 0
; VGPRBlocks: 0
; NumSGPRsForWavesPerEU: 27
; NumVGPRsForWavesPerEU: 8
; Occupancy: 16
; WaveLimiterHint : 0
; COMPUTE_PGM_RSRC2:SCRATCH_EN: 0
; COMPUTE_PGM_RSRC2:USER_SGPR: 2
; COMPUTE_PGM_RSRC2:TRAP_HANDLER: 0
; COMPUTE_PGM_RSRC2:TGID_X_EN: 1
; COMPUTE_PGM_RSRC2:TGID_Y_EN: 0
; COMPUTE_PGM_RSRC2:TGID_Z_EN: 0
; COMPUTE_PGM_RSRC2:TIDIG_COMP_CNT: 0
	.section	.AMDGPU.gpr_maximums,"",@progbits
	.set amdgpu.max_num_vgpr, 0
	.set amdgpu.max_num_agpr, 0
	.set amdgpu.max_num_sgpr, 0
	.section	.AMDGPU.csdata,"",@progbits
	.type	__hip_cuid_48c760cbd7d6e23d,@object ; @__hip_cuid_48c760cbd7d6e23d
	.section	.bss,"aw",@nobits
	.globl	__hip_cuid_48c760cbd7d6e23d
__hip_cuid_48c760cbd7d6e23d:
	.byte	0                               ; 0x0
	.size	__hip_cuid_48c760cbd7d6e23d, 1

	.ident	"AMD clang version 22.0.0git (https://github.com/RadeonOpenCompute/llvm-project roc-7.2.4 26084 f58b06dce1f9c15707c5f808fd002e18c2accf7e)"
	.section	".note.GNU-stack","",@progbits
	.addrsig
	.addrsig_sym __hip_cuid_48c760cbd7d6e23d
	.amdgpu_metadata
---
amdhsa.kernels:
  - .args:
      - .address_space:  global
        .offset:         0
        .size:           8
        .value_kind:     global_buffer
      - .actual_access:  read_only
        .address_space:  global
        .offset:         8
        .size:           8
        .value_kind:     global_buffer
      - .actual_access:  read_only
        .address_space:  global
        .offset:         16
        .size:           8
        .value_kind:     global_buffer
      - .actual_access:  read_only
        .address_space:  global
        .offset:         24
        .size:           8
        .value_kind:     global_buffer
      - .actual_access:  read_only
        .address_space:  global
        .offset:         32
        .size:           8
        .value_kind:     global_buffer
      - .offset:         40
        .size:           4
        .value_kind:     by_value
      - .offset:         44
        .size:           4
        .value_kind:     by_value
      - .offset:         48
        .size:           4
        .value_kind:     by_value
      - .offset:         52
        .size:           4
        .value_kind:     by_value
      - .offset:         56
        .size:           4
        .value_kind:     by_value
      - .offset:         60
        .size:           4
        .value_kind:     by_value
      - .offset:         64
        .size:           4
        .value_kind:     by_value
      - .offset:         68
        .size:           4
        .value_kind:     by_value
      - .offset:         72
        .size:           4
        .value_kind:     hidden_block_count_x
      - .offset:         76
        .size:           4
        .value_kind:     hidden_block_count_y
      - .offset:         80
        .size:           4
        .value_kind:     hidden_block_count_z
      - .offset:         84
        .size:           2
        .value_kind:     hidden_group_size_x
      - .offset:         86
        .size:           2
        .value_kind:     hidden_group_size_y
      - .offset:         88
        .size:           2
        .value_kind:     hidden_group_size_z
      - .offset:         90
        .size:           2
        .value_kind:     hidden_remainder_x
      - .offset:         92
        .size:           2
        .value_kind:     hidden_remainder_y
      - .offset:         94
        .size:           2
        .value_kind:     hidden_remainder_z
      - .offset:         112
        .size:           8
        .value_kind:     hidden_global_offset_x
      - .offset:         120
        .size:           8
        .value_kind:     hidden_global_offset_y
      - .offset:         128
        .size:           8
        .value_kind:     hidden_global_offset_z
      - .offset:         136
        .size:           2
        .value_kind:     hidden_grid_dims
    .group_segment_fixed_size: 0
    .kernarg_segment_align: 8
    .kernarg_segment_size: 328
    .language:       OpenCL C
    .language_version:
      - 2
      - 0
    .max_flat_workgroup_size: 1024
    .name:           _Z24reshape_and_cache_kernelIfhL18Fp8KVCacheDataType1EEvPKT_S3_PT0_S5_PKliiiiiiff
    .private_segment_fixed_size: 0
    .sgpr_count:     27
    .sgpr_spill_count: 0
    .symbol:         _Z24reshape_and_cache_kernelIfhL18Fp8KVCacheDataType1EEvPKT_S3_PT0_S5_PKliiiiiiff.kd
    .uniform_work_group_size: 1
    .uses_dynamic_stack: false
    .vgpr_count:     8
    .vgpr_spill_count: 0
    .wavefront_size: 32
    .workgroup_processor_mode: 1
  - .args:
      - .address_space:  global
        .offset:         0
        .size:           8
        .value_kind:     global_buffer
      - .actual_access:  read_only
        .address_space:  global
        .offset:         8
        .size:           8
        .value_kind:     global_buffer
      - .actual_access:  read_only
        .address_space:  global
        .offset:         16
        .size:           8
        .value_kind:     global_buffer
      - .actual_access:  read_only
        .address_space:  global
        .offset:         24
        .size:           8
        .value_kind:     global_buffer
      - .actual_access:  read_only
        .address_space:  global
        .offset:         32
        .size:           8
        .value_kind:     global_buffer
      - .offset:         40
        .size:           4
        .value_kind:     by_value
      - .offset:         44
        .size:           4
        .value_kind:     by_value
      - .offset:         48
        .size:           4
        .value_kind:     by_value
      - .offset:         52
        .size:           4
        .value_kind:     by_value
      - .offset:         56
        .size:           4
        .value_kind:     by_value
      - .offset:         60
        .size:           4
        .value_kind:     by_value
      - .offset:         64
        .size:           4
        .value_kind:     by_value
      - .offset:         68
        .size:           4
        .value_kind:     by_value
      - .offset:         72
        .size:           4
        .value_kind:     hidden_block_count_x
      - .offset:         76
        .size:           4
        .value_kind:     hidden_block_count_y
      - .offset:         80
        .size:           4
        .value_kind:     hidden_block_count_z
      - .offset:         84
        .size:           2
        .value_kind:     hidden_group_size_x
      - .offset:         86
        .size:           2
        .value_kind:     hidden_group_size_y
      - .offset:         88
        .size:           2
        .value_kind:     hidden_group_size_z
      - .offset:         90
        .size:           2
        .value_kind:     hidden_remainder_x
      - .offset:         92
        .size:           2
        .value_kind:     hidden_remainder_y
      - .offset:         94
        .size:           2
        .value_kind:     hidden_remainder_z
      - .offset:         112
        .size:           8
        .value_kind:     hidden_global_offset_x
      - .offset:         120
        .size:           8
        .value_kind:     hidden_global_offset_y
      - .offset:         128
        .size:           8
        .value_kind:     hidden_global_offset_z
      - .offset:         136
        .size:           2
        .value_kind:     hidden_grid_dims
    .group_segment_fixed_size: 0
    .kernarg_segment_align: 8
    .kernarg_segment_size: 328
    .language:       OpenCL C
    .language_version:
      - 2
      - 0
    .max_flat_workgroup_size: 1024
    .name:           _Z24reshape_and_cache_kernelI14__hip_bfloat16hL18Fp8KVCacheDataType1EEvPKT_S4_PT0_S6_PKliiiiiiff
    .private_segment_fixed_size: 0
    .sgpr_count:     27
    .sgpr_spill_count: 0
    .symbol:         _Z24reshape_and_cache_kernelI14__hip_bfloat16hL18Fp8KVCacheDataType1EEvPKT_S4_PT0_S6_PKliiiiiiff.kd
    .uniform_work_group_size: 1
    .uses_dynamic_stack: false
    .vgpr_count:     8
    .vgpr_spill_count: 0
    .wavefront_size: 32
    .workgroup_processor_mode: 1
amdhsa.target:   amdgcn-amd-amdhsa--gfx1201
amdhsa.version:
  - 1
  - 2
...

	.end_amdgpu_metadata
